;; amdgpu-corpus repo=ROCm/rocFFT kind=compiled arch=gfx1201 opt=O3
	.text
	.amdgcn_target "amdgcn-amd-amdhsa--gfx1201"
	.amdhsa_code_object_version 6
	.protected	fft_rtc_back_len121_factors_11_11_wgs_121_tpt_11_dp_op_CI_CI_sbrc_xy_z_unaligned_dirReg ; -- Begin function fft_rtc_back_len121_factors_11_11_wgs_121_tpt_11_dp_op_CI_CI_sbrc_xy_z_unaligned_dirReg
	.globl	fft_rtc_back_len121_factors_11_11_wgs_121_tpt_11_dp_op_CI_CI_sbrc_xy_z_unaligned_dirReg
	.p2align	8
	.type	fft_rtc_back_len121_factors_11_11_wgs_121_tpt_11_dp_op_CI_CI_sbrc_xy_z_unaligned_dirReg,@function
fft_rtc_back_len121_factors_11_11_wgs_121_tpt_11_dp_op_CI_CI_sbrc_xy_z_unaligned_dirReg: ; @fft_rtc_back_len121_factors_11_11_wgs_121_tpt_11_dp_op_CI_CI_sbrc_xy_z_unaligned_dirReg
; %bb.0:
	s_load_b128 s[4:7], s[0:1], 0x10
	s_mov_b32 s2, ttmp9
	s_mov_b64 s[24:25], 0
	s_wait_kmcnt 0x0
	s_load_b128 s[8:11], s[4:5], 0x8
	s_clause 0x1
	s_load_b128 s[12:15], s[6:7], 0x0
	s_load_b64 s[20:21], s[6:7], 0x10
	s_wait_kmcnt 0x0
	s_add_co_i32 s3, s10, -1
	s_delay_alu instid0(SALU_CYCLE_1) | instskip(NEXT) | instid1(SALU_CYCLE_1)
	s_mul_hi_u32 s3, s3, 0xba2e8ba3
	s_lshr_b32 s3, s3, 3
	s_delay_alu instid0(SALU_CYCLE_1) | instskip(NEXT) | instid1(SALU_CYCLE_1)
	s_add_co_i32 s3, s3, 1
	s_mul_i32 s4, s3, s8
	s_delay_alu instid0(SALU_CYCLE_1) | instskip(SKIP_1) | instid1(SALU_CYCLE_2)
	s_cvt_f32_u32 s3, s4
	s_sub_co_i32 s5, 0, s4
	v_rcp_iflag_f32_e32 v1, s3
	s_delay_alu instid0(TRANS32_DEP_1) | instskip(SKIP_1) | instid1(VALU_DEP_2)
	v_readfirstlane_b32 s3, v1
	v_cvt_f32_u32_e32 v1, s8
	s_mul_f32 s3, s3, 0x4f7ffffe
	s_wait_alu 0xfffe
	s_delay_alu instid0(SALU_CYCLE_2) | instskip(SKIP_1) | instid1(SALU_CYCLE_2)
	s_cvt_u32_f32 s3, s3
	s_wait_alu 0xfffe
	s_mul_i32 s5, s5, s3
	s_delay_alu instid0(SALU_CYCLE_1) | instskip(NEXT) | instid1(SALU_CYCLE_1)
	s_mul_hi_u32 s5, s3, s5
	s_add_co_i32 s3, s3, s5
	s_wait_alu 0xfffe
	s_mul_hi_u32 s3, ttmp9, s3
	s_wait_alu 0xfffe
	s_mul_i32 s5, s3, s4
	s_add_co_i32 s11, s3, 1
	s_sub_co_i32 s5, ttmp9, s5
	s_delay_alu instid0(SALU_CYCLE_1)
	s_sub_co_i32 s15, s5, s4
	s_cmp_ge_u32 s5, s4
	s_cselect_b32 s3, s11, s3
	s_cselect_b32 s5, s15, s5
	s_wait_alu 0xfffe
	s_add_co_i32 s11, s3, 1
	s_cmp_ge_u32 s5, s4
	s_cselect_b32 s16, s11, s3
	s_mov_b32 s3, 0
	s_mul_i32 s4, s16, s4
	s_wait_alu 0xfffe
	s_mov_b32 s5, s3
	s_sub_co_i32 s4, ttmp9, s4
	s_delay_alu instid0(SALU_CYCLE_1) | instskip(NEXT) | instid1(VALU_DEP_1)
	v_cmp_lt_u64_e64 s5, s[4:5], s[8:9]
	s_and_b32 vcc_lo, exec_lo, s5
	s_cbranch_vccnz .LBB0_2
; %bb.1:
	v_rcp_iflag_f32_e32 v2, v1
	s_sub_co_i32 s11, 0, s8
	s_delay_alu instid0(TRANS32_DEP_1) | instskip(NEXT) | instid1(VALU_DEP_1)
	v_mul_f32_e32 v2, 0x4f7ffffe, v2
	v_cvt_u32_f32_e32 v2, v2
	s_delay_alu instid0(VALU_DEP_1) | instskip(NEXT) | instid1(VALU_DEP_1)
	v_readfirstlane_b32 s5, v2
	s_mul_i32 s11, s11, s5
	s_delay_alu instid0(SALU_CYCLE_1) | instskip(NEXT) | instid1(SALU_CYCLE_1)
	s_mul_hi_u32 s11, s5, s11
	s_add_co_i32 s5, s5, s11
	s_wait_alu 0xfffe
	s_mul_hi_u32 s5, s4, s5
	s_wait_alu 0xfffe
	s_mul_i32 s11, s5, s8
	s_delay_alu instid0(SALU_CYCLE_1)
	s_sub_co_i32 s4, s4, s11
	s_add_co_i32 s11, s5, 1
	s_wait_alu 0xfffe
	s_sub_co_i32 s15, s4, s8
	s_cmp_ge_u32 s4, s8
	s_cselect_b32 s5, s11, s5
	s_cselect_b32 s4, s15, s4
	s_wait_alu 0xfffe
	s_add_co_i32 s11, s5, 1
	s_cmp_ge_u32 s4, s8
	s_cselect_b32 s24, s11, s5
.LBB0_2:
	s_load_b64 s[18:19], s[0:1], 0x20
	v_cmp_lt_u64_e64 s3, s[2:3], s[8:9]
	s_delay_alu instid0(VALU_DEP_1)
	s_and_b32 vcc_lo, exec_lo, s3
	s_cbranch_vccnz .LBB0_4
; %bb.3:
	v_rcp_iflag_f32_e32 v1, v1
	s_sub_co_i32 s4, 0, s8
	s_delay_alu instid0(TRANS32_DEP_1) | instskip(NEXT) | instid1(VALU_DEP_1)
	v_mul_f32_e32 v1, 0x4f7ffffe, v1
	v_cvt_u32_f32_e32 v1, v1
	s_delay_alu instid0(VALU_DEP_1) | instskip(SKIP_1) | instid1(VALU_DEP_1)
	v_readfirstlane_b32 s3, v1
	s_wait_alu 0xfffe
	s_mul_i32 s4, s4, s3
	s_wait_alu 0xfffe
	s_mul_hi_u32 s4, s3, s4
	s_wait_alu 0xfffe
	s_add_co_i32 s3, s3, s4
	s_wait_alu 0xfffe
	s_mul_hi_u32 s3, s2, s3
	s_wait_alu 0xfffe
	s_mul_i32 s3, s3, s8
	s_wait_alu 0xfffe
	s_sub_co_i32 s2, s2, s3
	s_wait_alu 0xfffe
	s_sub_co_i32 s3, s2, s8
	s_cmp_ge_u32 s2, s8
	s_wait_alu 0xfffe
	s_cselect_b32 s2, s3, s2
	s_wait_alu 0xfffe
	s_sub_co_i32 s3, s2, s8
	s_cmp_ge_u32 s2, s8
	s_wait_alu 0xfffe
	s_cselect_b32 s2, s3, s2
.LBB0_4:
	s_load_b64 s[4:5], s[0:1], 0x8
	v_mul_u32_u24_e32 v1, 0x21e, v0
	s_mov_b32 s25, 0
	s_mov_b32 s3, -1
	s_mov_b32 s17, s25
	s_delay_alu instid0(VALU_DEP_1) | instskip(NEXT) | instid1(VALU_DEP_1)
	v_lshrrev_b32_e32 v3, 16, v1
	v_mul_lo_u16 v1, 0x79, v3
	s_delay_alu instid0(VALU_DEP_1) | instskip(SKIP_2) | instid1(VALU_DEP_1)
	v_sub_nc_u16 v1, v0, v1
	s_wait_kmcnt 0x0
	s_lshl_b64 s[4:5], s[4:5], 3
	v_and_b32_e32 v33, 0xffff, v1
	s_wait_alu 0xfffe
	s_add_nc_u64 s[6:7], s[6:7], s[4:5]
	s_add_nc_u64 s[8:9], s[18:19], s[4:5]
	s_load_b64 s[26:27], s[6:7], 0x0
	s_load_b64 s[22:23], s[0:1], 0x58
	s_clause 0x2
	s_load_b128 s[4:7], s[18:19], 0x0
	s_load_b64 s[18:19], s[18:19], 0x10
	s_load_b64 s[8:9], s[8:9], 0x0
	s_wait_kmcnt 0x0
	s_mul_i32 s7, s2, s14
	s_mul_i32 s14, s24, 11
	s_delay_alu instid0(SALU_CYCLE_1) | instskip(SKIP_4) | instid1(SALU_CYCLE_1)
	s_mul_i32 s11, s14, s20
	s_add_co_i32 s15, s14, 11
	s_add_co_i32 s24, s7, s11
	s_cmp_le_u32 s15, s10
	s_cselect_b32 s7, -1, 0
	s_and_b32 vcc_lo, exec_lo, s7
	s_mul_u64 s[26:27], s[26:27], s[16:17]
	s_delay_alu instid0(SALU_CYCLE_1)
	s_add_nc_u64 s[24:25], s[26:27], s[24:25]
	s_cbranch_vccnz .LBB0_9
; %bb.5:
	v_add_nc_u32_e32 v4, s14, v3
	s_mov_b32 s3, exec_lo
	s_delay_alu instid0(VALU_DEP_1)
	v_cmpx_gt_u32_e64 s10, v4
	s_cbranch_execz .LBB0_8
; %bb.6:
	v_mad_co_u64_u32 v[1:2], null, s12, v33, 0
	s_lshl_b64 s[26:27], s[24:25], 4
	v_lshlrev_b32_e32 v8, 4, v3
	s_add_nc_u64 s[26:27], s[22:23], s[26:27]
	s_mov_b32 s11, 0
	s_mov_b32 s15, 0
	s_delay_alu instid0(VALU_DEP_2) | instskip(NEXT) | instid1(VALU_DEP_1)
	v_mad_co_u64_u32 v[5:6], null, s13, v33, v[2:3]
	v_mov_b32_e32 v2, v5
	v_mul_u32_u24_e32 v5, 0xb0, v33
	s_delay_alu instid0(VALU_DEP_2) | instskip(SKIP_1) | instid1(VALU_DEP_3)
	v_lshlrev_b64_e32 v[6:7], 4, v[1:2]
	v_mul_lo_u32 v1, v3, s20
	v_add3_u32 v5, v5, v8, 0
	v_mov_b32_e32 v2, 0
	s_delay_alu instid0(VALU_DEP_4)
	v_add_co_u32 v6, vcc_lo, s26, v6
	v_add_co_ci_u32_e32 v7, vcc_lo, s27, v7, vcc_lo
.LBB0_7:                                ; =>This Inner Loop Header: Depth=1
	s_delay_alu instid0(VALU_DEP_3)
	v_lshlrev_b64_e32 v[8:9], 4, v[1:2]
	s_wait_alu 0xfffe
	s_add_co_i32 s15, s15, 1
	v_add_nc_u32_e32 v1, s20, v1
	s_wait_alu 0xfffe
	v_add_nc_u32_e32 v12, s15, v4
	v_add_co_u32 v8, vcc_lo, v6, v8
	s_wait_alu 0xfffd
	v_add_co_ci_u32_e32 v9, vcc_lo, v7, v9, vcc_lo
	s_delay_alu instid0(VALU_DEP_3)
	v_cmp_le_u32_e32 vcc_lo, s10, v12
	global_load_b128 v[8:11], v[8:9], off
	s_or_b32 s11, vcc_lo, s11
	s_wait_loadcnt 0x0
	ds_store_b128 v5, v[8:11]
	v_add_nc_u32_e32 v5, 16, v5
	s_wait_alu 0xfffe
	s_and_not1_b32 exec_lo, exec_lo, s11
	s_cbranch_execnz .LBB0_7
.LBB0_8:
	s_wait_alu 0xfffe
	s_or_b32 exec_lo, exec_lo, s3
	s_mov_b32 s3, 0
.LBB0_9:
	s_wait_alu 0xfffe
	s_and_not1_b32 vcc_lo, exec_lo, s3
	s_wait_alu 0xfffe
	s_cbranch_vccnz .LBB0_11
; %bb.10:
	v_mad_co_u64_u32 v[1:2], null, s12, v33, 0
	v_mul_lo_u32 v28, s20, v3
	v_mov_b32_e32 v29, 0
	s_delay_alu instid0(VALU_DEP_3) | instskip(NEXT) | instid1(VALU_DEP_2)
	v_mad_co_u64_u32 v[6:7], null, s13, v33, v[2:3]
	v_lshlrev_b64_e32 v[4:5], 4, v[28:29]
	v_add_nc_u32_e32 v28, s20, v28
	s_lshl_b64 s[12:13], s[24:25], 4
	s_wait_alu 0xfffe
	s_add_nc_u64 s[12:13], s[22:23], s[12:13]
	s_delay_alu instid0(VALU_DEP_1) | instskip(NEXT) | instid1(VALU_DEP_4)
	v_lshlrev_b64_e32 v[7:8], 4, v[28:29]
	v_mov_b32_e32 v2, v6
	v_add_nc_u32_e32 v28, s20, v28
	s_delay_alu instid0(VALU_DEP_2) | instskip(NEXT) | instid1(VALU_DEP_2)
	v_lshlrev_b64_e32 v[1:2], 4, v[1:2]
	v_lshlrev_b64_e32 v[9:10], 4, v[28:29]
	v_add_nc_u32_e32 v28, s20, v28
	s_wait_alu 0xfffe
	s_delay_alu instid0(VALU_DEP_3)
	v_add_co_u32 v32, vcc_lo, s12, v1
	s_wait_alu 0xfffd
	v_add_co_ci_u32_e32 v40, vcc_lo, s13, v2, vcc_lo
	v_lshlrev_b64_e32 v[11:12], 4, v[28:29]
	v_add_nc_u32_e32 v28, s20, v28
	v_add_co_u32 v1, vcc_lo, v32, v4
	s_wait_alu 0xfffd
	v_add_co_ci_u32_e32 v2, vcc_lo, v40, v5, vcc_lo
	v_add_co_u32 v15, vcc_lo, v32, v7
	v_lshlrev_b64_e32 v[13:14], 4, v[28:29]
	v_add_nc_u32_e32 v28, s20, v28
	s_wait_alu 0xfffd
	v_add_co_ci_u32_e32 v16, vcc_lo, v40, v8, vcc_lo
	v_add_co_u32 v17, vcc_lo, v32, v9
	s_wait_alu 0xfffd
	v_add_co_ci_u32_e32 v18, vcc_lo, v40, v10, vcc_lo
	v_add_co_u32 v19, vcc_lo, v32, v11
	s_clause 0x1
	global_load_b128 v[4:7], v[1:2], off
	global_load_b128 v[8:11], v[15:16], off
	v_lshlrev_b64_e32 v[1:2], 4, v[28:29]
	v_add_nc_u32_e32 v28, s20, v28
	s_wait_alu 0xfffd
	v_add_co_ci_u32_e32 v20, vcc_lo, v40, v12, vcc_lo
	v_add_co_u32 v21, vcc_lo, v32, v13
	s_wait_alu 0xfffd
	v_add_co_ci_u32_e32 v22, vcc_lo, v40, v14, vcc_lo
	v_lshlrev_b64_e32 v[30:31], 4, v[28:29]
	v_add_nc_u32_e32 v28, s20, v28
	v_add_co_u32 v1, vcc_lo, v32, v1
	s_wait_alu 0xfffd
	v_add_co_ci_u32_e32 v2, vcc_lo, v40, v2, vcc_lo
	s_clause 0x3
	global_load_b128 v[12:15], v[17:18], off
	global_load_b128 v[16:19], v[19:20], off
	;; [unrolled: 1-line block ×4, first 2 shown]
	v_lshlrev_b64_e32 v[1:2], 4, v[28:29]
	v_add_nc_u32_e32 v28, s20, v28
	v_add_co_u32 v30, vcc_lo, v32, v30
	s_wait_alu 0xfffd
	v_add_co_ci_u32_e32 v31, vcc_lo, v40, v31, vcc_lo
	s_delay_alu instid0(VALU_DEP_3) | instskip(SKIP_4) | instid1(VALU_DEP_3)
	v_lshlrev_b64_e32 v[34:35], 4, v[28:29]
	v_add_nc_u32_e32 v28, s20, v28
	v_add_co_u32 v1, vcc_lo, v32, v1
	s_wait_alu 0xfffd
	v_add_co_ci_u32_e32 v2, vcc_lo, v40, v2, vcc_lo
	v_lshlrev_b64_e32 v[36:37], 4, v[28:29]
	v_add_nc_u32_e32 v28, s20, v28
	v_add_co_u32 v38, vcc_lo, v32, v34
	s_wait_alu 0xfffd
	v_add_co_ci_u32_e32 v39, vcc_lo, v40, v35, vcc_lo
	s_delay_alu instid0(VALU_DEP_3) | instskip(SKIP_3) | instid1(VALU_DEP_3)
	v_lshlrev_b64_e32 v[28:29], 4, v[28:29]
	v_add_co_u32 v42, vcc_lo, v32, v36
	s_wait_alu 0xfffd
	v_add_co_ci_u32_e32 v43, vcc_lo, v40, v37, vcc_lo
	v_add_co_u32 v46, vcc_lo, v32, v28
	s_wait_alu 0xfffd
	v_add_co_ci_u32_e32 v47, vcc_lo, v40, v29, vcc_lo
	s_clause 0x4
	global_load_b128 v[28:31], v[30:31], off
	global_load_b128 v[34:37], v[1:2], off
	;; [unrolled: 1-line block ×5, first 2 shown]
	v_mul_u32_u24_e32 v1, 0xb0, v33
	v_lshlrev_b32_e32 v2, 4, v3
	s_delay_alu instid0(VALU_DEP_1)
	v_add3_u32 v1, 0, v1, v2
	s_wait_loadcnt 0xa
	ds_store_b128 v1, v[4:7]
	s_wait_loadcnt 0x9
	ds_store_b128 v1, v[8:11] offset:16
	s_wait_loadcnt 0x8
	ds_store_b128 v1, v[12:15] offset:32
	s_wait_loadcnt 0x7
	ds_store_b128 v1, v[16:19] offset:48
	s_wait_loadcnt 0x6
	ds_store_b128 v1, v[20:23] offset:64
	s_wait_loadcnt 0x5
	ds_store_b128 v1, v[24:27] offset:80
	s_wait_loadcnt 0x4
	ds_store_b128 v1, v[28:31] offset:96
	s_wait_loadcnt 0x3
	ds_store_b128 v1, v[34:37] offset:112
	s_wait_loadcnt 0x2
	ds_store_b128 v1, v[38:41] offset:128
	s_wait_loadcnt 0x1
	ds_store_b128 v1, v[42:45] offset:144
	s_wait_loadcnt 0x0
	ds_store_b128 v1, v[46:49] offset:160
.LBB0_11:
	v_and_b32_e32 v1, 0xffff, v0
	v_mul_hi_u32 v36, 0x1745d175, v0
	global_wb scope:SCOPE_SE
	s_wait_dscnt 0x0
	s_barrier_signal -1
	s_barrier_wait -1
	v_mul_u32_u24_e32 v1, 0x1746, v1
	global_inv scope:SCOPE_SE
	s_mov_b32 s34, 0x8eee2c13
	s_mov_b32 s20, 0xd9c712b6
	;; [unrolled: 1-line block ×3, first 2 shown]
	v_lshrrev_b32_e32 v1, 16, v1
	s_mov_b32 s12, 0x8764f0ba
	s_mov_b32 s35, 0xbfed1bb4
	;; [unrolled: 1-line block ×4, first 2 shown]
	v_mul_lo_u16 v1, v1, 11
	s_mov_b32 s30, 0x640f44db
	s_mov_b32 s23, 0xbfe14ced
	;; [unrolled: 1-line block ×4, first 2 shown]
	v_sub_nc_u16 v1, v0, v1
	s_mov_b32 s31, 0xbfc2375f
	s_mov_b32 s36, 0xbb3a28a1
	;; [unrolled: 1-line block ×4, first 2 shown]
	v_and_b32_e32 v34, 0xffff, v1
	v_mul_u32_u24_e32 v1, 0xb0, v36
	s_mov_b32 s37, 0xbfe82f19
	s_mov_b32 s27, 0xbfe4f49e
	;; [unrolled: 1-line block ×3, first 2 shown]
	v_lshlrev_b32_e32 v2, 4, v34
	s_mov_b32 s28, 0x9bcd5057
	s_mov_b32 s29, 0xbfeeb42a
	;; [unrolled: 1-line block ×4, first 2 shown]
	v_add3_u32 v35, 0, v1, v2
	s_mov_b32 s25, 0x3fe14ced
	s_mov_b32 s39, 0x3fefac9e
	;; [unrolled: 1-line block ×4, first 2 shown]
	ds_load_b128 v[5:8], v35
	ds_load_b128 v[25:28], v35 offset:1936
	ds_load_b128 v[1:4], v35 offset:19360
	;; [unrolled: 1-line block ×10, first 2 shown]
	s_mov_b32 s38, s44
	s_mov_b32 s46, s40
	;; [unrolled: 1-line block ×5, first 2 shown]
	global_wb scope:SCOPE_SE
	s_wait_dscnt 0x0
	s_barrier_signal -1
	s_barrier_wait -1
	global_inv scope:SCOPE_SE
	v_add_f64_e32 v[29:30], v[5:6], v[25:26]
	v_add_f64_e32 v[31:32], v[7:8], v[27:28]
	v_add_f64_e64 v[53:54], v[27:28], -v[3:4]
	v_add_f64_e32 v[55:56], v[27:28], v[3:4]
	v_add_f64_e64 v[63:64], v[43:44], -v[15:16]
	v_add_f64_e32 v[69:70], v[41:42], v[13:14]
	v_add_f64_e32 v[71:72], v[43:44], v[15:16]
	v_add_f64_e64 v[73:74], v[41:42], -v[13:14]
	v_add_f64_e64 v[57:58], v[39:40], -v[11:12]
	v_add_f64_e32 v[65:66], v[25:26], v[1:2]
	v_add_f64_e64 v[67:68], v[25:26], -v[1:2]
	v_add_f64_e32 v[75:76], v[23:24], v[19:20]
	v_add_f64_e64 v[77:78], v[23:24], -v[19:20]
	v_add_f64_e32 v[83:84], v[37:38], v[9:10]
	v_add_f64_e32 v[79:80], v[47:48], v[51:52]
	v_add_f64_e64 v[81:82], v[47:48], -v[51:52]
	v_add_f64_e32 v[27:28], v[45:46], v[49:50]
	v_add_f64_e64 v[25:26], v[45:46], -v[49:50]
	v_add_f64_e32 v[59:60], v[29:30], v[37:38]
	v_add_f64_e32 v[61:62], v[31:32], v[39:40]
	;; [unrolled: 1-line block ×3, first 2 shown]
	v_mul_f64_e32 v[89:90], s[34:35], v[53:54]
	s_wait_alu 0xfffe
	v_mul_f64_e32 v[91:92], s[20:21], v[55:56]
	v_mul_f64_e32 v[85:86], s[22:23], v[53:54]
	;; [unrolled: 1-line block ×9, first 2 shown]
	v_add_f64_e32 v[31:32], v[21:22], v[17:18]
	v_add_f64_e64 v[29:30], v[21:22], -v[17:18]
	v_add_f64_e64 v[37:38], v[37:38], -v[9:10]
	v_mul_f64_e32 v[103:104], s[36:37], v[57:58]
	v_mul_f64_e32 v[101:102], s[34:35], v[57:58]
	;; [unrolled: 1-line block ×22, first 2 shown]
	v_add_f64_e32 v[41:42], v[59:60], v[41:42]
	v_add_f64_e32 v[43:44], v[61:62], v[43:44]
	v_mul_f64_e32 v[61:62], s[26:27], v[39:40]
	v_mul_f64_e32 v[59:60], s[20:21], v[39:40]
	;; [unrolled: 1-line block ×3, first 2 shown]
	v_fma_f64 v[155:156], v[65:66], s[12:13], v[85:86]
	v_fma_f64 v[157:158], v[67:68], s[24:25], v[87:88]
	v_fma_f64 v[85:86], v[65:66], s[12:13], -v[85:86]
	v_fma_f64 v[87:88], v[67:68], s[22:23], v[87:88]
	v_fma_f64 v[159:160], v[65:66], s[30:31], v[93:94]
	;; [unrolled: 1-line block ×3, first 2 shown]
	v_mul_f64_e32 v[111:112], s[30:31], v[39:40]
	v_fma_f64 v[93:94], v[65:66], s[30:31], -v[93:94]
	v_fma_f64 v[163:164], v[65:66], s[26:27], v[97:98]
	v_fma_f64 v[97:98], v[65:66], s[26:27], -v[97:98]
	v_fma_f64 v[165:166], v[65:66], s[28:29], v[53:54]
	v_fma_f64 v[53:54], v[65:66], s[28:29], -v[53:54]
	v_mul_f64_e32 v[39:40], s[12:13], v[39:40]
	v_fma_f64 v[167:168], v[67:68], s[46:47], v[55:56]
	v_fma_f64 v[95:96], v[67:68], s[44:45], v[95:96]
	;; [unrolled: 1-line block ×4, first 2 shown]
	v_fma_f64 v[103:104], v[83:84], s[26:27], -v[103:104]
	v_fma_f64 v[171:172], v[83:84], s[28:29], v[105:106]
	v_fma_f64 v[105:106], v[83:84], s[28:29], -v[105:106]
	v_fma_f64 v[173:174], v[83:84], s[30:31], v[107:108]
	;; [unrolled: 2-line block ×3, first 2 shown]
	v_fma_f64 v[57:58], v[83:84], s[12:13], -v[57:58]
	v_mul_f64_e32 v[141:142], s[12:13], v[75:76]
	v_fma_f64 v[185:186], v[69:70], s[12:13], v[119:120]
	v_fma_f64 v[119:120], v[69:70], s[12:13], -v[119:120]
	v_fma_f64 v[187:188], v[69:70], s[26:27], v[63:64]
	v_fma_f64 v[63:64], v[69:70], s[26:27], -v[63:64]
	v_mul_f64_e32 v[143:144], s[28:29], v[75:76]
	v_mul_f64_e32 v[75:76], s[20:21], v[75:76]
	;; [unrolled: 1-line block ×4, first 2 shown]
	v_add_f64_e32 v[21:22], v[41:42], v[21:22]
	v_add_f64_e32 v[23:24], v[43:44], v[23:24]
	v_fma_f64 v[41:42], v[65:66], s[20:21], v[89:90]
	v_fma_f64 v[43:44], v[67:68], s[42:43], v[91:92]
	v_fma_f64 v[89:90], v[65:66], s[20:21], -v[89:90]
	v_fma_f64 v[65:66], v[67:68], s[48:49], v[99:100]
	v_fma_f64 v[91:92], v[67:68], s[34:35], v[91:92]
	;; [unrolled: 1-line block ×5, first 2 shown]
	v_fma_f64 v[101:102], v[83:84], s[20:21], -v[101:102]
	v_fma_f64 v[83:84], v[37:38], s[42:43], v[59:60]
	v_fma_f64 v[59:60], v[37:38], s[34:35], v[59:60]
	;; [unrolled: 1-line block ×3, first 2 shown]
	v_add_f64_e32 v[155:156], v[5:6], v[155:156]
	v_add_f64_e32 v[85:86], v[5:6], v[85:86]
	;; [unrolled: 1-line block ×5, first 2 shown]
	v_fma_f64 v[181:182], v[37:38], s[44:45], v[111:112]
	v_add_f64_e32 v[93:94], v[5:6], v[93:94]
	v_add_f64_e32 v[163:164], v[5:6], v[163:164]
	v_fma_f64 v[183:184], v[37:38], s[22:23], v[39:40]
	v_add_f64_e32 v[97:98], v[5:6], v[97:98]
	v_add_f64_e32 v[165:166], v[5:6], v[165:166]
	;; [unrolled: 1-line block ×3, first 2 shown]
	v_fma_f64 v[61:62], v[37:38], s[36:37], v[61:62]
	v_fma_f64 v[109:110], v[37:38], s[46:47], v[109:110]
	;; [unrolled: 1-line block ×4, first 2 shown]
	v_add_f64_e32 v[157:158], v[7:8], v[157:158]
	v_add_f64_e32 v[95:96], v[7:8], v[95:96]
	v_fma_f64 v[39:40], v[69:70], s[30:31], v[113:114]
	v_mul_f64_e32 v[145:146], s[40:41], v[81:82]
	v_mul_f64_e32 v[149:150], s[36:37], v[81:82]
	;; [unrolled: 1-line block ×4, first 2 shown]
	v_add_f64_e32 v[21:22], v[21:22], v[45:46]
	v_add_f64_e32 v[23:24], v[23:24], v[47:48]
	;; [unrolled: 1-line block ×10, first 2 shown]
	v_fma_f64 v[47:48], v[69:70], s[28:29], v[115:116]
	v_fma_f64 v[53:54], v[73:74], s[40:41], v[123:124]
	v_fma_f64 v[45:46], v[69:70], s[30:31], -v[113:114]
	v_fma_f64 v[113:114], v[69:70], s[28:29], -v[115:116]
	v_fma_f64 v[115:116], v[69:70], s[20:21], v[117:118]
	v_fma_f64 v[117:118], v[69:70], s[20:21], -v[117:118]
	v_fma_f64 v[69:70], v[73:74], s[38:39], v[121:122]
	v_fma_f64 v[121:122], v[73:74], s[44:45], v[121:122]
	;; [unrolled: 1-line block ×4, first 2 shown]
	v_add_f64_e32 v[67:68], v[67:68], v[155:156]
	v_add_f64_e32 v[85:86], v[101:102], v[85:86]
	;; [unrolled: 1-line block ×10, first 2 shown]
	v_fma_f64 v[125:126], v[73:74], s[42:43], v[125:126]
	v_add_f64_e32 v[83:84], v[83:84], v[157:158]
	v_mul_f64_e32 v[155:156], s[20:21], v[79:80]
	v_mul_f64_e32 v[101:102], s[30:31], v[79:80]
	v_fma_f64 v[87:88], v[31:32], s[26:27], v[129:130]
	v_fma_f64 v[129:130], v[31:32], s[26:27], -v[129:130]
	v_add_f64_e32 v[21:22], v[21:22], v[49:50]
	v_add_f64_e32 v[23:24], v[23:24], v[51:52]
	;; [unrolled: 1-line block ×4, first 2 shown]
	v_fma_f64 v[49:50], v[73:74], s[24:25], v[127:128]
	v_add_f64_e32 v[89:90], v[103:104], v[89:90]
	v_add_f64_e32 v[65:66], v[181:182], v[65:66]
	v_fma_f64 v[51:52], v[73:74], s[22:23], v[127:128]
	v_fma_f64 v[127:128], v[73:74], s[48:49], v[71:72]
	;; [unrolled: 1-line block ×3, first 2 shown]
	v_add_f64_e32 v[5:6], v[57:58], v[5:6]
	v_add_f64_e32 v[7:8], v[37:38], v[7:8]
	;; [unrolled: 1-line block ×5, first 2 shown]
	v_fma_f64 v[169:170], v[31:32], s[30:31], v[131:132]
	v_fma_f64 v[91:92], v[29:30], s[44:45], v[139:140]
	v_mul_f64_e32 v[73:74], s[26:27], v[79:80]
	v_mul_f64_e32 v[79:80], s[28:29], v[79:80]
	v_fma_f64 v[177:178], v[31:32], s[12:13], v[133:134]
	v_fma_f64 v[99:100], v[29:30], s[24:25], v[141:142]
	v_add_f64_e32 v[39:40], v[39:40], v[67:68]
	v_add_f64_e32 v[45:46], v[45:46], v[85:86]
	;; [unrolled: 1-line block ×4, first 2 shown]
	v_fma_f64 v[103:104], v[31:32], s[28:29], v[135:136]
	v_fma_f64 v[111:112], v[29:30], s[46:47], v[143:144]
	v_fma_f64 v[133:134], v[31:32], s[12:13], -v[133:134]
	v_fma_f64 v[95:96], v[29:30], s[38:39], v[139:140]
	v_fma_f64 v[139:140], v[29:30], s[34:35], v[75:76]
	v_add_f64_e32 v[85:86], v[117:118], v[93:94]
	v_add_f64_e32 v[93:94], v[187:188], v[107:108]
	v_fma_f64 v[131:132], v[31:32], s[30:31], -v[131:132]
	v_fma_f64 v[135:136], v[31:32], s[28:29], -v[135:136]
	v_fma_f64 v[109:110], v[29:30], s[22:23], v[141:142]
	v_fma_f64 v[141:142], v[27:28], s[28:29], -v[145:146]
	v_fma_f64 v[107:108], v[25:26], s[42:43], v[155:156]
	v_add_f64_e32 v[17:18], v[21:22], v[17:18]
	v_add_f64_e32 v[19:20], v[23:24], v[19:20]
	;; [unrolled: 1-line block ×4, first 2 shown]
	v_fma_f64 v[21:22], v[31:32], s[20:21], v[77:78]
	v_fma_f64 v[23:24], v[31:32], s[20:21], -v[77:78]
	v_fma_f64 v[77:78], v[29:30], s[36:37], v[137:138]
	v_add_f64_e32 v[53:54], v[115:116], v[159:160]
	v_add_f64_e32 v[47:48], v[113:114], v[89:90]
	;; [unrolled: 1-line block ×6, first 2 shown]
	v_fma_f64 v[31:32], v[29:30], s[48:49], v[137:138]
	v_fma_f64 v[137:138], v[29:30], s[40:41], v[143:144]
	;; [unrolled: 1-line block ×3, first 2 shown]
	v_add_f64_e32 v[5:6], v[63:64], v[5:6]
	v_add_f64_e32 v[7:8], v[71:72], v[7:8]
	;; [unrolled: 1-line block ×6, first 2 shown]
	v_fma_f64 v[143:144], v[27:28], s[12:13], v[147:148]
	v_fma_f64 v[75:76], v[27:28], s[28:29], v[145:146]
	v_fma_f64 v[145:146], v[27:28], s[12:13], -v[147:148]
	v_fma_f64 v[61:62], v[27:28], s[26:27], -v[149:150]
	v_fma_f64 v[63:64], v[27:28], s[20:21], v[151:152]
	v_fma_f64 v[69:70], v[27:28], s[20:21], -v[151:152]
	v_fma_f64 v[71:72], v[27:28], s[30:31], v[81:82]
	v_fma_f64 v[83:84], v[25:26], s[48:49], v[73:74]
	;; [unrolled: 1-line block ×8, first 2 shown]
	v_add_f64_e32 v[13:14], v[17:18], v[13:14]
	v_add_f64_e32 v[15:16], v[19:20], v[15:16]
	v_fma_f64 v[17:18], v[25:26], s[22:23], v[153:154]
	v_add_f64_e32 v[41:42], v[169:170], v[41:42]
	v_add_f64_e32 v[43:44], v[91:92], v[43:44]
	v_fma_f64 v[19:20], v[27:28], s[26:27], v[149:150]
	v_fma_f64 v[27:28], v[27:28], s[30:31], -v[81:82]
	v_fma_f64 v[81:82], v[25:26], s[24:25], v[153:154]
	v_add_f64_e32 v[25:26], v[87:88], v[39:40]
	v_add_f64_e32 v[39:40], v[129:130], v[45:46]
	;; [unrolled: 1-line block ×40, first 2 shown]
	v_add_nc_u32_e32 v49, s14, v34
	s_delay_alu instid0(VALU_DEP_1)
	v_cmp_gt_u32_e32 vcc_lo, s10, v49
	v_mad_u32_u24 v49, 0x6e0, v36, v35
	s_or_b32 s7, s7, vcc_lo
	v_add_f64_e32 v[1:2], v[93:94], v[1:2]
	v_add_f64_e32 v[3:4], v[95:96], v[3:4]
	ds_store_b128 v49, v[13:16] offset:352
	ds_store_b128 v49, v[21:24] offset:528
	;; [unrolled: 1-line block ×10, first 2 shown]
	ds_store_b128 v49, v[1:4]
	global_wb scope:SCOPE_SE
	s_wait_dscnt 0x0
	s_barrier_signal -1
	s_barrier_wait -1
	global_inv scope:SCOPE_SE
	s_and_saveexec_b32 s10, s7
	s_cbranch_execz .LBB0_13
; %bb.12:
	v_mul_hi_u32 v1, 0x1745d175, v36
	s_load_b64 s[10:11], s[0:1], 0x0
	v_sub_nc_u32_e32 v33, v0, v33
	s_load_b64 s[0:1], s[0:1], 0x60
	s_mov_b32 s15, s3
	s_mul_i32 s2, s2, s18
	s_mul_u64 s[8:9], s[8:9], s[16:17]
	s_wait_alu 0xfffe
	s_lshl_b64 s[2:3], s[2:3], 4
	v_mul_u32_u24_e32 v1, 11, v1
	s_delay_alu instid0(VALU_DEP_1) | instskip(NEXT) | instid1(VALU_DEP_1)
	v_sub_nc_u32_e32 v36, v36, v1
	v_mul_u32_u24_e32 v1, 10, v36
	s_delay_alu instid0(VALU_DEP_1)
	v_lshlrev_b32_e32 v1, 4, v1
	s_wait_kmcnt 0x0
	s_clause 0x9
	global_load_b128 v[37:40], v1, s[10:11]
	global_load_b128 v[29:32], v1, s[10:11] offset:64
	global_load_b128 v[25:28], v1, s[10:11] offset:80
	;; [unrolled: 1-line block ×9, first 2 shown]
	ds_load_b128 v[49:52], v35 offset:1936
	ds_load_b128 v[1:4], v35
	ds_load_b128 v[53:56], v35 offset:9680
	ds_load_b128 v[57:60], v35 offset:11616
	;; [unrolled: 1-line block ×9, first 2 shown]
	s_wait_loadcnt_dscnt 0x90a
	v_mul_f64_e32 v[89:90], v[49:50], v[39:40]
	v_mul_f64_e32 v[39:40], v[51:52], v[39:40]
	s_wait_loadcnt_dscnt 0x808
	v_mul_f64_e32 v[91:92], v[55:56], v[31:32]
	s_wait_loadcnt_dscnt 0x707
	v_mul_f64_e32 v[93:94], v[59:60], v[27:28]
	v_mul_f64_e32 v[31:32], v[53:54], v[31:32]
	;; [unrolled: 1-line block ×3, first 2 shown]
	s_wait_loadcnt_dscnt 0x606
	v_mul_f64_e32 v[95:96], v[63:64], v[23:24]
	s_wait_loadcnt_dscnt 0x505
	v_mul_f64_e32 v[97:98], v[67:68], v[11:12]
	v_mul_f64_e32 v[23:24], v[61:62], v[23:24]
	s_wait_loadcnt_dscnt 0x404
	v_mul_f64_e32 v[99:100], v[69:70], v[19:20]
	v_mul_f64_e32 v[19:20], v[71:72], v[19:20]
	;; [unrolled: 1-line block ×3, first 2 shown]
	s_wait_loadcnt_dscnt 0x202
	v_mul_f64_e32 v[101:102], v[79:80], v[7:8]
	s_wait_loadcnt_dscnt 0x101
	v_mul_f64_e32 v[103:104], v[83:84], v[43:44]
	;; [unrolled: 2-line block ×3, first 2 shown]
	v_mul_f64_e32 v[7:8], v[77:78], v[7:8]
	v_fma_f64 v[51:52], v[51:52], v[37:38], -v[89:90]
	v_fma_f64 v[37:38], v[49:50], v[37:38], v[39:40]
	v_mul_f64_e32 v[89:90], v[75:76], v[15:16]
	v_mul_f64_e32 v[15:16], v[73:74], v[15:16]
	;; [unrolled: 1-line block ×4, first 2 shown]
	v_fma_f64 v[49:50], v[53:54], v[29:30], v[91:92]
	v_fma_f64 v[53:54], v[57:58], v[25:26], v[93:94]
	v_fma_f64 v[29:30], v[55:56], v[29:30], -v[31:32]
	v_fma_f64 v[25:26], v[59:60], v[25:26], -v[27:28]
	v_fma_f64 v[27:28], v[61:62], v[21:22], v[95:96]
	v_fma_f64 v[31:32], v[65:66], v[9:10], v[97:98]
	v_fma_f64 v[21:22], v[63:64], v[21:22], -v[23:24]
	v_fma_f64 v[23:24], v[71:72], v[17:18], -v[99:100]
	v_fma_f64 v[17:18], v[69:70], v[17:18], v[19:20]
	v_fma_f64 v[9:10], v[67:68], v[9:10], -v[11:12]
	v_mad_co_u64_u32 v[47:48], null, s4, v34, 0
	v_fma_f64 v[59:60], v[77:78], v[5:6], v[101:102]
	v_fma_f64 v[61:62], v[85:86], v[45:46], v[105:106]
	v_fma_f64 v[5:6], v[79:80], v[5:6], -v[7:8]
	v_fma_f64 v[19:20], v[81:82], v[41:42], v[103:104]
	v_mov_b32_e32 v0, v48
	v_add_f64_e32 v[55:56], v[3:4], v[51:52]
	v_add_f64_e32 v[11:12], v[1:2], v[37:38]
	v_fma_f64 v[57:58], v[73:74], v[13:14], v[89:90]
	v_fma_f64 v[13:14], v[75:76], v[13:14], -v[15:16]
	v_fma_f64 v[7:8], v[83:84], v[41:42], -v[39:40]
	;; [unrolled: 1-line block ×3, first 2 shown]
	v_mad_co_u64_u32 v[15:16], null, s5, v34, v[0:1]
	v_dual_mov_b32 v45, 0 :: v_dual_add_nc_u32 v0, v33, v36
	v_add_f64_e64 v[67:68], v[29:30], -v[25:26]
	v_add_f64_e32 v[91:92], v[27:28], v[31:32]
	v_add_f64_e32 v[83:84], v[29:30], v[25:26]
	s_delay_alu instid0(VALU_DEP_4)
	v_mul_lo_u32 v44, v0, s6
	v_mov_b32_e32 v48, v15
	v_add_f64_e64 v[69:70], v[21:22], -v[9:10]
	v_add_f64_e32 v[85:86], v[21:22], v[9:10]
	v_add_f64_e64 v[41:42], v[49:50], -v[53:54]
	v_add_f64_e32 v[89:90], v[49:50], v[53:54]
	v_add_f64_e64 v[65:66], v[37:38], -v[61:62]
	v_lshlrev_b64_e32 v[15:16], 4, v[47:48]
	v_add_f64_e64 v[63:64], v[17:18], -v[19:20]
	v_add_f64_e64 v[46:47], v[27:28], -v[31:32]
	s_mul_u64 s[4:5], s[4:5], s[14:15]
	v_lshlrev_b64_e32 v[33:34], 4, v[44:45]
	s_wait_alu 0xfffe
	s_lshl_b64 s[4:5], s[4:5], 4
	s_wait_alu 0xfffe
	s_add_nc_u64 s[0:1], s[0:1], s[4:5]
	s_lshl_b64 s[4:5], s[8:9], 4
	s_add_nc_u64 s[2:3], s[0:1], s[2:3]
	s_mul_i32 s0, s6, 11
	s_wait_alu 0xfffe
	s_add_nc_u64 s[2:3], s[2:3], s[4:5]
	v_add_nc_u32_e32 v44, s0, v44
	s_wait_alu 0xfffe
	v_add_co_u32 v189, vcc_lo, s2, v15
	s_wait_alu 0xfffd
	v_add_co_ci_u32_e32 v190, vcc_lo, s3, v16, vcc_lo
	v_lshlrev_b64_e32 v[15:16], 4, v[44:45]
	v_add_f64_e32 v[35:36], v[55:56], v[23:24]
	v_add_f64_e32 v[11:12], v[11:12], v[17:18]
	v_add_f64_e64 v[55:56], v[57:58], -v[59:60]
	v_add_f64_e64 v[71:72], v[13:14], -v[5:6]
	v_add_f64_e32 v[87:88], v[13:14], v[5:6]
	v_add_f64_e64 v[75:76], v[51:52], -v[39:40]
	v_add_f64_e64 v[73:74], v[23:24], -v[7:8]
	v_add_f64_e32 v[51:52], v[51:52], v[39:40]
	v_add_f64_e32 v[93:94], v[57:58], v[59:60]
	;; [unrolled: 1-line block ×4, first 2 shown]
	v_mul_f64_e32 v[107:108], s[44:45], v[67:68]
	v_mul_f64_e32 v[121:122], s[42:43], v[67:68]
	v_add_nc_u32_e32 v44, s0, v44
	v_add_co_u32 v77, vcc_lo, v189, v33
	v_mul_f64_e32 v[109:110], s[42:43], v[69:70]
	v_mul_f64_e32 v[125:126], s[40:41], v[69:70]
	;; [unrolled: 1-line block ×12, first 2 shown]
	s_wait_alu 0xfffd
	v_add_co_ci_u32_e32 v78, vcc_lo, v190, v34, vcc_lo
	v_lshlrev_b64_e32 v[33:34], 4, v[44:45]
	v_add_nc_u32_e32 v44, s0, v44
	v_add_co_u32 v79, vcc_lo, v189, v15
	s_wait_alu 0xfffd
	v_add_co_ci_u32_e32 v80, vcc_lo, v190, v16, vcc_lo
	s_delay_alu instid0(VALU_DEP_3)
	v_lshlrev_b64_e32 v[15:16], 4, v[44:45]
	v_add_nc_u32_e32 v44, s0, v44
	v_add_f64_e32 v[13:14], v[35:36], v[13:14]
	v_add_f64_e32 v[11:12], v[11:12], v[57:58]
	v_add_f64_e32 v[35:36], v[37:38], v[61:62]
	v_mul_f64_e32 v[57:58], s[40:41], v[65:66]
	v_mul_f64_e32 v[65:66], s[22:23], v[65:66]
	;; [unrolled: 1-line block ×16, first 2 shown]
	v_fma_f64 v[165:166], v[51:52], s[26:27], v[119:120]
	v_fma_f64 v[119:120], v[51:52], s[26:27], -v[119:120]
	v_mul_f64_e32 v[151:152], s[46:47], v[71:72]
	v_fma_f64 v[169:170], v[51:52], s[30:31], v[129:130]
	v_fma_f64 v[129:130], v[51:52], s[30:31], -v[129:130]
	v_fma_f64 v[173:174], v[51:52], s[20:21], v[137:138]
	v_fma_f64 v[137:138], v[51:52], s[20:21], -v[137:138]
	v_mul_f64_e32 v[153:154], s[36:37], v[73:74]
	v_mul_f64_e32 v[145:146], s[46:47], v[73:74]
	v_fma_f64 v[155:156], v[23:24], s[12:13], v[99:100]
	v_fma_f64 v[99:100], v[23:24], s[12:13], -v[99:100]
	v_fma_f64 v[183:184], v[23:24], s[28:29], v[141:142]
	v_fma_f64 v[141:142], v[23:24], s[28:29], -v[141:142]
	v_mul_f64_e32 v[37:38], s[44:45], v[41:42]
	v_add_co_u32 v81, vcc_lo, v189, v33
	s_wait_alu 0xfffd
	v_add_co_ci_u32_e32 v82, vcc_lo, v190, v34, vcc_lo
	v_lshlrev_b64_e32 v[33:34], 4, v[44:45]
	v_add_f64_e32 v[13:14], v[13:14], v[21:22]
	v_add_f64_e32 v[11:12], v[11:12], v[27:28]
	v_mul_f64_e32 v[21:22], s[44:45], v[55:56]
	v_fma_f64 v[27:28], v[51:52], s[28:29], v[57:58]
	v_mul_f64_e32 v[55:56], s[34:35], v[63:64]
	v_fma_f64 v[161:162], v[35:36], s[28:29], -v[105:106]
	v_fma_f64 v[105:106], v[35:36], s[28:29], v[105:106]
	v_mul_f64_e32 v[63:64], s[44:45], v[71:72]
	v_mul_f64_e32 v[71:72], s[34:35], v[73:74]
	v_fma_f64 v[57:58], v[51:52], s[28:29], -v[57:58]
	v_fma_f64 v[167:168], v[35:36], s[26:27], -v[123:124]
	v_fma_f64 v[123:124], v[35:36], s[26:27], v[123:124]
	v_fma_f64 v[171:172], v[35:36], s[30:31], -v[131:132]
	v_fma_f64 v[131:132], v[35:36], s[30:31], v[131:132]
	;; [unrolled: 2-line block ×3, first 2 shown]
	v_fma_f64 v[177:178], v[51:52], s[12:13], v[65:66]
	v_fma_f64 v[179:180], v[35:36], s[12:13], -v[75:76]
	v_fma_f64 v[51:52], v[51:52], s[12:13], -v[65:66]
	v_fma_f64 v[35:36], v[35:36], s[12:13], v[75:76]
	v_fma_f64 v[159:160], v[17:18], s[12:13], -v[103:104]
	v_fma_f64 v[103:104], v[17:18], s[12:13], v[103:104]
	v_fma_f64 v[163:164], v[87:88], s[12:13], v[115:116]
	;; [unrolled: 1-line block ×3, first 2 shown]
	v_add_f64_e32 v[165:166], v[3:4], v[165:166]
	v_add_f64_e32 v[119:120], v[3:4], v[119:120]
	v_fma_f64 v[181:182], v[17:18], s[30:31], -v[133:134]
	v_add_f64_e32 v[169:170], v[3:4], v[169:170]
	v_add_f64_e32 v[129:130], v[3:4], v[129:130]
	;; [unrolled: 1-line block ×4, first 2 shown]
	v_fma_f64 v[185:186], v[17:18], s[28:29], -v[145:146]
	v_fma_f64 v[145:146], v[17:18], s[28:29], v[145:146]
	v_fma_f64 v[75:76], v[93:94], s[12:13], -v[127:128]
	v_fma_f64 v[73:74], v[87:88], s[26:27], v[97:98]
	;; [unrolled: 2-line block ×3, first 2 shown]
	v_fma_f64 v[97:98], v[87:88], s[26:27], -v[97:98]
	v_add_f64_e32 v[13:14], v[13:14], v[29:30]
	v_add_f64_e32 v[11:12], v[11:12], v[49:50]
	v_fma_f64 v[29:30], v[87:88], s[12:13], -v[115:116]
	v_fma_f64 v[115:116], v[23:24], s[30:31], -v[117:118]
	v_add_f64_e32 v[27:28], v[3:4], v[27:28]
	v_add_f64_e32 v[161:162], v[1:2], v[161:162]
	;; [unrolled: 1-line block ×3, first 2 shown]
	v_fma_f64 v[117:118], v[93:94], s[12:13], v[127:128]
	v_fma_f64 v[127:128], v[17:18], s[30:31], v[133:134]
	v_add_f64_e32 v[57:58], v[3:4], v[57:58]
	v_add_f64_e32 v[167:168], v[1:2], v[167:168]
	;; [unrolled: 1-line block ×11, first 2 shown]
	v_fma_f64 v[35:36], v[23:24], s[26:27], -v[149:150]
	v_fma_f64 v[50:51], v[23:24], s[26:27], v[149:150]
	v_fma_f64 v[149:150], v[23:24], s[20:21], -v[55:56]
	v_fma_f64 v[23:24], v[23:24], s[20:21], v[55:56]
	;; [unrolled: 2-line block ×3, first 2 shown]
	v_add_f64_e32 v[65:66], v[65:66], v[165:166]
	v_mul_f64_e32 v[165:166], s[38:39], v[46:47]
	v_fma_f64 v[133:134], v[87:88], s[20:21], v[135:136]
	v_fma_f64 v[135:136], v[87:88], s[20:21], -v[135:136]
	v_fma_f64 v[187:188], v[87:88], s[28:29], v[147:148]
	v_fma_f64 v[147:148], v[87:88], s[28:29], -v[147:148]
	v_add_f64_e32 v[129:130], v[141:142], v[129:130]
	v_fma_f64 v[48:49], v[93:94], s[20:21], -v[143:144]
	v_fma_f64 v[143:144], v[93:94], s[20:21], v[143:144]
	v_fma_f64 v[141:142], v[83:84], s[30:31], v[37:38]
	v_fma_f64 v[37:38], v[83:84], s[30:31], -v[37:38]
	v_add_nc_u32_e32 v44, s0, v44
	v_add_f64_e32 v[13:14], v[13:14], v[25:26]
	v_add_f64_e32 v[11:12], v[11:12], v[53:54]
	v_fma_f64 v[52:53], v[17:18], s[20:21], v[71:72]
	v_fma_f64 v[17:18], v[17:18], s[20:21], -v[71:72]
	v_add_f64_e32 v[27:28], v[155:156], v[27:28]
	v_mul_f64_e32 v[155:156], s[22:23], v[46:47]
	v_add_f64_e32 v[159:160], v[159:160], v[161:162]
	v_add_f64_e32 v[103:104], v[103:104], v[105:106]
	;; [unrolled: 1-line block ×3, first 2 shown]
	v_mul_f64_e32 v[46:47], s[36:37], v[46:47]
	v_fma_f64 v[71:72], v[87:88], s[30:31], v[21:22]
	v_fma_f64 v[21:22], v[87:88], s[30:31], -v[21:22]
	v_fma_f64 v[87:88], v[93:94], s[30:31], -v[63:64]
	v_fma_f64 v[63:64], v[93:94], s[30:31], v[63:64]
	v_add_f64_e32 v[57:58], v[99:100], v[57:58]
	v_mul_f64_e32 v[99:100], s[22:23], v[69:70]
	v_add_f64_e32 v[167:168], v[181:182], v[167:168]
	v_mul_f64_e32 v[181:182], s[38:39], v[69:70]
	v_mul_f64_e32 v[69:70], s[36:37], v[69:70]
	v_fma_f64 v[25:26], v[93:94], s[28:29], -v[151:152]
	v_fma_f64 v[151:152], v[93:94], s[28:29], v[151:152]
	v_add_f64_e32 v[35:36], v[35:36], v[137:138]
	v_add_f64_e32 v[2:3], v[149:150], v[3:4]
	;; [unrolled: 1-line block ×7, first 2 shown]
	v_mul_f64_e32 v[161:162], s[36:37], v[67:68]
	v_mul_f64_e32 v[119:120], s[24:25], v[67:68]
	;; [unrolled: 1-line block ×3, first 2 shown]
	v_fma_f64 v[137:138], v[85:86], s[20:21], v[95:96]
	v_fma_f64 v[95:96], v[85:86], s[20:21], -v[95:96]
	v_mul_f64_e32 v[93:94], s[36:37], v[41:42]
	v_mul_f64_e32 v[105:106], s[24:25], v[41:42]
	;; [unrolled: 1-line block ×3, first 2 shown]
	v_add_f64_e32 v[65:66], v[163:164], v[65:66]
	v_fma_f64 v[149:150], v[89:90], s[30:31], -v[107:108]
	v_add_f64_e32 v[9:10], v[13:14], v[9:10]
	v_add_f64_e32 v[11:12], v[11:12], v[31:32]
	;; [unrolled: 1-line block ×7, first 2 shown]
	v_fma_f64 v[13:14], v[91:92], s[20:21], -v[109:110]
	v_fma_f64 v[109:110], v[91:92], s[20:21], v[109:110]
	v_fma_f64 v[139:140], v[85:86], s[28:29], v[113:114]
	v_fma_f64 v[113:114], v[85:86], s[28:29], -v[113:114]
	v_fma_f64 v[153:154], v[85:86], s[12:13], v[155:156]
	v_fma_f64 v[155:156], v[85:86], s[12:13], -v[155:156]
	;; [unrolled: 2-line block ×4, first 2 shown]
	v_add_f64_e32 v[27:28], v[73:74], v[27:28]
	v_add_f64_e32 v[73:74], v[157:158], v[159:160]
	;; [unrolled: 1-line block ×4, first 2 shown]
	v_fma_f64 v[179:180], v[91:92], s[26:27], -v[69:70]
	v_fma_f64 v[69:70], v[91:92], s[26:27], v[69:70]
	v_add_f64_e32 v[2:3], v[21:22], v[2:3]
	v_fma_f64 v[145:146], v[91:92], s[28:29], -v[125:126]
	v_fma_f64 v[125:126], v[91:92], s[28:29], v[125:126]
	v_fma_f64 v[169:170], v[91:92], s[12:13], -v[99:100]
	v_fma_f64 v[99:100], v[91:92], s[12:13], v[99:100]
	;; [unrolled: 2-line block ×3, first 2 shown]
	v_add_f64_e32 v[91:92], v[135:136], v[129:130]
	v_add_f64_e32 v[35:36], v[147:148], v[35:36]
	;; [unrolled: 1-line block ×7, first 2 shown]
	v_fma_f64 v[107:108], v[89:90], s[30:31], v[107:108]
	v_add_f64_e32 v[4:5], v[9:10], v[5:6]
	v_add_f64_e32 v[9:10], v[11:12], v[59:60]
	;; [unrolled: 1-line block ×9, first 2 shown]
	v_fma_f64 v[54:55], v[83:84], s[20:21], v[111:112]
	v_fma_f64 v[58:59], v[89:90], s[20:21], -v[121:122]
	v_fma_f64 v[63:64], v[83:84], s[20:21], -v[111:112]
	v_fma_f64 v[71:72], v[89:90], s[20:21], v[121:122]
	v_fma_f64 v[97:98], v[89:90], s[26:27], -v[161:162]
	v_fma_f64 v[101:102], v[89:90], s[26:27], v[161:162]
	;; [unrolled: 2-line block ×4, first 2 shown]
	v_add_f64_e32 v[27:28], v[137:138], v[27:28]
	v_add_f64_e32 v[13:14], v[13:14], v[73:74]
	;; [unrolled: 1-line block ×4, first 2 shown]
	v_fma_f64 v[117:118], v[83:84], s[28:29], v[41:42]
	v_fma_f64 v[41:42], v[83:84], s[28:29], -v[41:42]
	v_add_f64_e32 v[46:47], v[46:47], v[2:3]
	v_fma_f64 v[87:88], v[83:84], s[26:27], v[93:94]
	v_fma_f64 v[93:94], v[83:84], s[26:27], -v[93:94]
	v_fma_f64 v[103:104], v[83:84], s[12:13], v[105:106]
	v_fma_f64 v[105:106], v[83:84], s[12:13], -v[105:106]
	v_add_f64_e32 v[83:84], v[155:156], v[91:92]
	v_add_f64_e32 v[35:36], v[165:166], v[35:36]
	;; [unrolled: 1-line block ×17, first 2 shown]
	v_add_co_u32 v123, vcc_lo, v189, v15
	v_lshlrev_b64_e32 v[0:1], 4, v[44:45]
	s_wait_alu 0xfffd
	v_add_co_ci_u32_e32 v124, vcc_lo, v190, v16, vcc_lo
	v_add_co_u32 v125, vcc_lo, v189, v33
	s_wait_alu 0xfffd
	v_add_co_ci_u32_e32 v126, vcc_lo, v190, v34, vcc_lo
	v_add_co_u32 v129, vcc_lo, v189, v0
	s_wait_alu 0xfffd
	v_add_co_ci_u32_e32 v130, vcc_lo, v190, v1, vcc_lo
	v_add_f64_e32 v[2:3], v[141:142], v[27:28]
	v_add_f64_e32 v[0:1], v[149:150], v[13:14]
	;; [unrolled: 1-line block ×4, first 2 shown]
	v_add_nc_u32_e32 v44, s0, v44
	v_add_f64_e32 v[4:5], v[107:108], v[73:74]
	v_add_f64_e32 v[18:19], v[93:94], v[83:84]
	;; [unrolled: 1-line block ×6, first 2 shown]
	v_lshlrev_b64_e32 v[127:128], 4, v[44:45]
	v_add_f64_e32 v[36:37], v[111:112], v[109:110]
	v_add_nc_u32_e32 v44, s0, v44
	v_add_f64_e32 v[30:31], v[85:86], v[39:40]
	v_add_f64_e32 v[28:29], v[89:90], v[61:62]
	;; [unrolled: 1-line block ×11, first 2 shown]
	v_lshlrev_b64_e32 v[46:47], 4, v[44:45]
	v_add_nc_u32_e32 v44, s0, v44
	v_add_co_u32 v48, vcc_lo, v189, v127
	s_wait_alu 0xfffd
	v_add_co_ci_u32_e32 v49, vcc_lo, v190, v128, vcc_lo
	s_delay_alu instid0(VALU_DEP_3) | instskip(SKIP_4) | instid1(VALU_DEP_3)
	v_lshlrev_b64_e32 v[50:51], 4, v[44:45]
	v_add_nc_u32_e32 v44, s0, v44
	v_add_co_u32 v46, vcc_lo, v189, v46
	s_wait_alu 0xfffd
	v_add_co_ci_u32_e32 v47, vcc_lo, v190, v47, vcc_lo
	v_lshlrev_b64_e32 v[52:53], 4, v[44:45]
	v_add_nc_u32_e32 v44, s0, v44
	v_add_co_u32 v50, vcc_lo, v189, v50
	s_wait_alu 0xfffd
	v_add_co_ci_u32_e32 v51, vcc_lo, v190, v51, vcc_lo
	s_delay_alu instid0(VALU_DEP_3) | instskip(SKIP_3) | instid1(VALU_DEP_3)
	v_lshlrev_b64_e32 v[44:45], 4, v[44:45]
	v_add_co_u32 v52, vcc_lo, v189, v52
	s_wait_alu 0xfffd
	v_add_co_ci_u32_e32 v53, vcc_lo, v190, v53, vcc_lo
	v_add_co_u32 v44, vcc_lo, v189, v44
	s_wait_alu 0xfffd
	v_add_co_ci_u32_e32 v45, vcc_lo, v190, v45, vcc_lo
	s_clause 0xa
	global_store_b128 v[77:78], v[28:31], off
	global_store_b128 v[79:80], v[24:27], off
	;; [unrolled: 1-line block ×11, first 2 shown]
.LBB0_13:
	s_nop 0
	s_sendmsg sendmsg(MSG_DEALLOC_VGPRS)
	s_endpgm
	.section	.rodata,"a",@progbits
	.p2align	6, 0x0
	.amdhsa_kernel fft_rtc_back_len121_factors_11_11_wgs_121_tpt_11_dp_op_CI_CI_sbrc_xy_z_unaligned_dirReg
		.amdhsa_group_segment_fixed_size 0
		.amdhsa_private_segment_fixed_size 0
		.amdhsa_kernarg_size 104
		.amdhsa_user_sgpr_count 2
		.amdhsa_user_sgpr_dispatch_ptr 0
		.amdhsa_user_sgpr_queue_ptr 0
		.amdhsa_user_sgpr_kernarg_segment_ptr 1
		.amdhsa_user_sgpr_dispatch_id 0
		.amdhsa_user_sgpr_private_segment_size 0
		.amdhsa_wavefront_size32 1
		.amdhsa_uses_dynamic_stack 0
		.amdhsa_enable_private_segment 0
		.amdhsa_system_sgpr_workgroup_id_x 1
		.amdhsa_system_sgpr_workgroup_id_y 0
		.amdhsa_system_sgpr_workgroup_id_z 0
		.amdhsa_system_sgpr_workgroup_info 0
		.amdhsa_system_vgpr_workitem_id 0
		.amdhsa_next_free_vgpr 191
		.amdhsa_next_free_sgpr 50
		.amdhsa_reserve_vcc 1
		.amdhsa_float_round_mode_32 0
		.amdhsa_float_round_mode_16_64 0
		.amdhsa_float_denorm_mode_32 3
		.amdhsa_float_denorm_mode_16_64 3
		.amdhsa_fp16_overflow 0
		.amdhsa_workgroup_processor_mode 1
		.amdhsa_memory_ordered 1
		.amdhsa_forward_progress 0
		.amdhsa_round_robin_scheduling 0
		.amdhsa_exception_fp_ieee_invalid_op 0
		.amdhsa_exception_fp_denorm_src 0
		.amdhsa_exception_fp_ieee_div_zero 0
		.amdhsa_exception_fp_ieee_overflow 0
		.amdhsa_exception_fp_ieee_underflow 0
		.amdhsa_exception_fp_ieee_inexact 0
		.amdhsa_exception_int_div_zero 0
	.end_amdhsa_kernel
	.text
.Lfunc_end0:
	.size	fft_rtc_back_len121_factors_11_11_wgs_121_tpt_11_dp_op_CI_CI_sbrc_xy_z_unaligned_dirReg, .Lfunc_end0-fft_rtc_back_len121_factors_11_11_wgs_121_tpt_11_dp_op_CI_CI_sbrc_xy_z_unaligned_dirReg
                                        ; -- End function
	.section	.AMDGPU.csdata,"",@progbits
; Kernel info:
; codeLenInByte = 6516
; NumSgprs: 52
; NumVgprs: 191
; ScratchSize: 0
; MemoryBound: 0
; FloatMode: 240
; IeeeMode: 1
; LDSByteSize: 0 bytes/workgroup (compile time only)
; SGPRBlocks: 6
; VGPRBlocks: 23
; NumSGPRsForWavesPerEU: 52
; NumVGPRsForWavesPerEU: 191
; Occupancy: 8
; WaveLimiterHint : 1
; COMPUTE_PGM_RSRC2:SCRATCH_EN: 0
; COMPUTE_PGM_RSRC2:USER_SGPR: 2
; COMPUTE_PGM_RSRC2:TRAP_HANDLER: 0
; COMPUTE_PGM_RSRC2:TGID_X_EN: 1
; COMPUTE_PGM_RSRC2:TGID_Y_EN: 0
; COMPUTE_PGM_RSRC2:TGID_Z_EN: 0
; COMPUTE_PGM_RSRC2:TIDIG_COMP_CNT: 0
	.text
	.p2alignl 7, 3214868480
	.fill 96, 4, 3214868480
	.type	__hip_cuid_a5800687ec02024f,@object ; @__hip_cuid_a5800687ec02024f
	.section	.bss,"aw",@nobits
	.globl	__hip_cuid_a5800687ec02024f
__hip_cuid_a5800687ec02024f:
	.byte	0                               ; 0x0
	.size	__hip_cuid_a5800687ec02024f, 1

	.ident	"AMD clang version 19.0.0git (https://github.com/RadeonOpenCompute/llvm-project roc-6.4.0 25133 c7fe45cf4b819c5991fe208aaa96edf142730f1d)"
	.section	".note.GNU-stack","",@progbits
	.addrsig
	.addrsig_sym __hip_cuid_a5800687ec02024f
	.amdgpu_metadata
---
amdhsa.kernels:
  - .args:
      - .actual_access:  read_only
        .address_space:  global
        .offset:         0
        .size:           8
        .value_kind:     global_buffer
      - .offset:         8
        .size:           8
        .value_kind:     by_value
      - .actual_access:  read_only
        .address_space:  global
        .offset:         16
        .size:           8
        .value_kind:     global_buffer
      - .actual_access:  read_only
        .address_space:  global
        .offset:         24
        .size:           8
        .value_kind:     global_buffer
      - .actual_access:  read_only
        .address_space:  global
        .offset:         32
        .size:           8
        .value_kind:     global_buffer
      - .offset:         40
        .size:           8
        .value_kind:     by_value
      - .actual_access:  read_only
        .address_space:  global
        .offset:         48
        .size:           8
        .value_kind:     global_buffer
      - .actual_access:  read_only
        .address_space:  global
        .offset:         56
        .size:           8
        .value_kind:     global_buffer
      - .offset:         64
        .size:           4
        .value_kind:     by_value
      - .actual_access:  read_only
        .address_space:  global
        .offset:         72
        .size:           8
        .value_kind:     global_buffer
      - .actual_access:  read_only
        .address_space:  global
        .offset:         80
        .size:           8
        .value_kind:     global_buffer
      - .actual_access:  read_only
        .address_space:  global
        .offset:         88
        .size:           8
        .value_kind:     global_buffer
      - .actual_access:  write_only
        .address_space:  global
        .offset:         96
        .size:           8
        .value_kind:     global_buffer
    .group_segment_fixed_size: 0
    .kernarg_segment_align: 8
    .kernarg_segment_size: 104
    .language:       OpenCL C
    .language_version:
      - 2
      - 0
    .max_flat_workgroup_size: 121
    .name:           fft_rtc_back_len121_factors_11_11_wgs_121_tpt_11_dp_op_CI_CI_sbrc_xy_z_unaligned_dirReg
    .private_segment_fixed_size: 0
    .sgpr_count:     52
    .sgpr_spill_count: 0
    .symbol:         fft_rtc_back_len121_factors_11_11_wgs_121_tpt_11_dp_op_CI_CI_sbrc_xy_z_unaligned_dirReg.kd
    .uniform_work_group_size: 1
    .uses_dynamic_stack: false
    .vgpr_count:     191
    .vgpr_spill_count: 0
    .wavefront_size: 32
    .workgroup_processor_mode: 1
amdhsa.target:   amdgcn-amd-amdhsa--gfx1201
amdhsa.version:
  - 1
  - 2
...

	.end_amdgpu_metadata
